;; amdgpu-corpus repo=ROCm/rocFFT kind=compiled arch=gfx1100 opt=O3
	.text
	.amdgcn_target "amdgcn-amd-amdhsa--gfx1100"
	.amdhsa_code_object_version 6
	.protected	fft_rtc_fwd_len160_factors_4_10_4_wgs_192_tpt_16_sp_ip_CI_sbcc_dirReg_intrinsicRead ; -- Begin function fft_rtc_fwd_len160_factors_4_10_4_wgs_192_tpt_16_sp_ip_CI_sbcc_dirReg_intrinsicRead
	.globl	fft_rtc_fwd_len160_factors_4_10_4_wgs_192_tpt_16_sp_ip_CI_sbcc_dirReg_intrinsicRead
	.p2align	8
	.type	fft_rtc_fwd_len160_factors_4_10_4_wgs_192_tpt_16_sp_ip_CI_sbcc_dirReg_intrinsicRead,@function
fft_rtc_fwd_len160_factors_4_10_4_wgs_192_tpt_16_sp_ip_CI_sbcc_dirReg_intrinsicRead: ; @fft_rtc_fwd_len160_factors_4_10_4_wgs_192_tpt_16_sp_ip_CI_sbcc_dirReg_intrinsicRead
; %bb.0:
	s_load_b128 s[8:11], s[0:1], 0x18
	s_mov_b32 s16, s15
	s_mov_b64 s[22:23], 0
	s_waitcnt lgkmcnt(0)
	s_load_b64 s[2:3], s[8:9], 0x8
	s_waitcnt lgkmcnt(0)
	s_add_u32 s4, s2, -1
	s_addc_u32 s5, s3, -1
	s_add_u32 s6, 0, 0x55540000
	s_addc_u32 s7, 0, 0x55
	s_mul_hi_u32 s13, s6, -12
	s_add_i32 s7, s7, 0x15555500
	s_sub_i32 s13, s13, s6
	s_mul_i32 s15, s7, -12
	s_mul_i32 s12, s6, -12
	s_add_i32 s13, s13, s15
	s_mul_hi_u32 s14, s6, s12
	s_mul_i32 s18, s6, s13
	s_mul_hi_u32 s15, s6, s13
	s_mul_hi_u32 s17, s7, s12
	s_mul_i32 s12, s7, s12
	s_add_u32 s14, s14, s18
	s_addc_u32 s15, 0, s15
	s_mul_hi_u32 s19, s7, s13
	s_add_u32 s12, s14, s12
	s_mul_i32 s13, s7, s13
	s_addc_u32 s12, s15, s17
	s_addc_u32 s14, s19, 0
	s_add_u32 s12, s12, s13
	s_delay_alu instid0(SALU_CYCLE_1) | instskip(SKIP_3) | instid1(VALU_DEP_1)
	v_add_co_u32 v1, s6, s6, s12
	s_addc_u32 s12, 0, s14
	s_cmp_lg_u32 s6, 0
	s_addc_u32 s6, s7, s12
	v_readfirstlane_b32 s7, v1
	s_mul_i32 s13, s4, s6
	s_mul_hi_u32 s12, s4, s6
	s_mul_hi_u32 s14, s5, s6
	s_mul_i32 s6, s5, s6
	s_mul_hi_u32 s15, s4, s7
	s_mul_hi_u32 s17, s5, s7
	s_mul_i32 s7, s5, s7
	s_add_u32 s13, s15, s13
	s_addc_u32 s12, 0, s12
	s_add_u32 s7, s13, s7
	s_addc_u32 s7, s12, s17
	s_addc_u32 s12, s14, 0
	s_add_u32 s6, s7, s6
	s_addc_u32 s7, 0, s12
	s_mul_i32 s13, s6, 12
	s_add_u32 s12, s6, 1
	v_sub_co_u32 v1, s4, s4, s13
	s_mul_hi_u32 s13, s6, 12
	s_addc_u32 s14, s7, 0
	s_mul_i32 s15, s7, 12
	s_delay_alu instid0(VALU_DEP_1)
	v_sub_co_u32 v2, s17, v1, 12
	s_add_u32 s18, s6, 2
	s_addc_u32 s19, s7, 0
	s_add_i32 s13, s13, s15
	s_cmp_lg_u32 s4, 0
	v_readfirstlane_b32 s4, v2
	s_subb_u32 s5, s5, s13
	s_cmp_lg_u32 s17, 0
	s_mov_b32 s17, 0
	s_subb_u32 s13, s5, 0
	s_cmp_gt_u32 s4, 11
	s_cselect_b32 s4, -1, 0
	s_cmp_eq_u32 s13, 0
	v_readfirstlane_b32 s13, v1
	s_cselect_b32 s4, s4, -1
	s_delay_alu instid0(SALU_CYCLE_1)
	s_cmp_lg_u32 s4, 0
	s_cselect_b32 s4, s18, s12
	s_cselect_b32 s12, s19, s14
	s_cmp_gt_u32 s13, 11
	s_cselect_b32 s13, -1, 0
	s_cmp_eq_u32 s5, 0
	s_cselect_b32 s5, s13, -1
	s_delay_alu instid0(SALU_CYCLE_1) | instskip(SKIP_4) | instid1(SALU_CYCLE_1)
	s_cmp_lg_u32 s5, 0
	s_cselect_b32 s4, s4, s6
	s_cselect_b32 s5, s12, s7
	s_add_u32 s18, s4, 1
	s_addc_u32 s19, s5, 0
	v_cmp_lt_u64_e64 s4, s[16:17], s[18:19]
	s_delay_alu instid0(VALU_DEP_1)
	s_and_b32 vcc_lo, exec_lo, s4
	s_cbranch_vccnz .LBB0_2
; %bb.1:
	v_cvt_f32_u32_e32 v1, s18
	s_sub_i32 s5, 0, s18
	s_mov_b32 s23, s17
	s_delay_alu instid0(VALU_DEP_1) | instskip(SKIP_2) | instid1(VALU_DEP_1)
	v_rcp_iflag_f32_e32 v1, v1
	s_waitcnt_depctr 0xfff
	v_mul_f32_e32 v1, 0x4f7ffffe, v1
	v_cvt_u32_f32_e32 v1, v1
	s_delay_alu instid0(VALU_DEP_1) | instskip(NEXT) | instid1(VALU_DEP_1)
	v_readfirstlane_b32 s4, v1
	s_mul_i32 s5, s5, s4
	s_delay_alu instid0(SALU_CYCLE_1) | instskip(NEXT) | instid1(SALU_CYCLE_1)
	s_mul_hi_u32 s5, s4, s5
	s_add_i32 s4, s4, s5
	s_delay_alu instid0(SALU_CYCLE_1) | instskip(NEXT) | instid1(SALU_CYCLE_1)
	s_mul_hi_u32 s4, s16, s4
	s_mul_i32 s5, s4, s18
	s_add_i32 s6, s4, 1
	s_sub_i32 s5, s16, s5
	s_delay_alu instid0(SALU_CYCLE_1)
	s_sub_i32 s7, s5, s18
	s_cmp_ge_u32 s5, s18
	s_cselect_b32 s4, s6, s4
	s_cselect_b32 s5, s7, s5
	s_add_i32 s6, s4, 1
	s_cmp_ge_u32 s5, s18
	s_cselect_b32 s22, s6, s4
.LBB0_2:
	s_load_b128 s[4:7], s[10:11], 0x0
	s_clause 0x2
	s_load_b64 s[20:21], s[0:1], 0x10
	s_load_b64 s[12:13], s[0:1], 0x58
	;; [unrolled: 1-line block ×3, first 2 shown]
	s_mul_i32 s0, s22, s19
	s_mul_hi_u32 s1, s22, s18
	s_mul_i32 s24, s22, s18
	s_add_i32 s1, s1, s0
	s_sub_u32 s34, s16, s24
	s_subb_u32 s0, 0, s1
	s_mul_hi_u32 s33, s34, 12
	s_mul_i32 s0, s0, 12
	s_mul_i32 s34, s34, 12
	s_add_i32 s33, s33, s0
	s_waitcnt lgkmcnt(0)
	s_mul_i32 s0, s6, s33
	v_cmp_lt_u64_e64 s24, s[20:21], 3
	s_mul_hi_u32 s1, s6, s34
	s_mul_i32 s36, s6, s34
	s_add_i32 s0, s1, s0
	s_mul_i32 s1, s7, s34
	s_delay_alu instid0(SALU_CYCLE_1)
	s_add_i32 s35, s0, s1
	s_and_b32 vcc_lo, exec_lo, s24
	s_cbranch_vccnz .LBB0_12
; %bb.3:
	s_add_u32 s0, s10, 16
	s_addc_u32 s1, s11, 0
	s_add_u32 s8, s8, 16
	s_addc_u32 s9, s9, 0
	s_mov_b64 s[24:25], 2
	s_mov_b32 s26, 0
.LBB0_4:                                ; =>This Inner Loop Header: Depth=1
	s_load_b64 s[28:29], s[8:9], 0x0
	s_waitcnt lgkmcnt(0)
	s_or_b64 s[30:31], s[22:23], s[28:29]
	s_delay_alu instid0(SALU_CYCLE_1) | instskip(NEXT) | instid1(SALU_CYCLE_1)
	s_mov_b32 s27, s31
                                        ; implicit-def: $sgpr30_sgpr31
	s_cmp_lg_u64 s[26:27], 0
	s_mov_b32 s27, -1
	s_cbranch_scc0 .LBB0_6
; %bb.5:                                ;   in Loop: Header=BB0_4 Depth=1
	v_cvt_f32_u32_e32 v1, s28
	v_cvt_f32_u32_e32 v2, s29
	s_sub_u32 s31, 0, s28
	s_subb_u32 s37, 0, s29
	s_delay_alu instid0(VALU_DEP_1) | instskip(NEXT) | instid1(VALU_DEP_1)
	v_fmac_f32_e32 v1, 0x4f800000, v2
	v_rcp_f32_e32 v1, v1
	s_waitcnt_depctr 0xfff
	v_mul_f32_e32 v1, 0x5f7ffffc, v1
	s_delay_alu instid0(VALU_DEP_1) | instskip(NEXT) | instid1(VALU_DEP_1)
	v_mul_f32_e32 v2, 0x2f800000, v1
	v_trunc_f32_e32 v2, v2
	s_delay_alu instid0(VALU_DEP_1) | instskip(SKIP_1) | instid1(VALU_DEP_2)
	v_fmac_f32_e32 v1, 0xcf800000, v2
	v_cvt_u32_f32_e32 v2, v2
	v_cvt_u32_f32_e32 v1, v1
	s_delay_alu instid0(VALU_DEP_2) | instskip(NEXT) | instid1(VALU_DEP_2)
	v_readfirstlane_b32 s27, v2
	v_readfirstlane_b32 s30, v1
	s_delay_alu instid0(VALU_DEP_2) | instskip(NEXT) | instid1(VALU_DEP_1)
	s_mul_i32 s38, s31, s27
	s_mul_hi_u32 s40, s31, s30
	s_mul_i32 s39, s37, s30
	s_add_i32 s38, s40, s38
	s_mul_i32 s41, s31, s30
	s_add_i32 s38, s38, s39
	s_mul_hi_u32 s40, s30, s41
	s_mul_hi_u32 s42, s27, s41
	s_mul_i32 s39, s27, s41
	s_mul_hi_u32 s41, s30, s38
	s_mul_i32 s30, s30, s38
	s_mul_hi_u32 s43, s27, s38
	s_add_u32 s30, s40, s30
	s_addc_u32 s40, 0, s41
	s_add_u32 s30, s30, s39
	s_mul_i32 s38, s27, s38
	s_addc_u32 s30, s40, s42
	s_addc_u32 s39, s43, 0
	s_add_u32 s30, s30, s38
	s_addc_u32 s38, 0, s39
	v_add_co_u32 v1, s30, v1, s30
	s_delay_alu instid0(VALU_DEP_1) | instskip(SKIP_1) | instid1(VALU_DEP_1)
	s_cmp_lg_u32 s30, 0
	s_addc_u32 s27, s27, s38
	v_readfirstlane_b32 s30, v1
	s_mul_i32 s38, s31, s27
	s_delay_alu instid0(VALU_DEP_1)
	s_mul_hi_u32 s39, s31, s30
	s_mul_i32 s37, s37, s30
	s_add_i32 s38, s39, s38
	s_mul_i32 s31, s31, s30
	s_add_i32 s38, s38, s37
	s_mul_hi_u32 s39, s27, s31
	s_mul_i32 s40, s27, s31
	s_mul_hi_u32 s31, s30, s31
	s_mul_hi_u32 s41, s30, s38
	s_mul_i32 s30, s30, s38
	s_mul_hi_u32 s37, s27, s38
	s_add_u32 s30, s31, s30
	s_addc_u32 s31, 0, s41
	s_add_u32 s30, s30, s40
	s_mul_i32 s38, s27, s38
	s_addc_u32 s30, s31, s39
	s_addc_u32 s31, s37, 0
	s_add_u32 s30, s30, s38
	s_addc_u32 s31, 0, s31
	v_add_co_u32 v1, s30, v1, s30
	s_delay_alu instid0(VALU_DEP_1) | instskip(SKIP_1) | instid1(VALU_DEP_1)
	s_cmp_lg_u32 s30, 0
	s_addc_u32 s27, s27, s31
	v_readfirstlane_b32 s30, v1
	s_mul_i32 s37, s22, s27
	s_mul_hi_u32 s31, s22, s27
	s_mul_hi_u32 s38, s23, s27
	s_mul_i32 s27, s23, s27
	s_mul_hi_u32 s39, s22, s30
	s_mul_hi_u32 s40, s23, s30
	s_mul_i32 s30, s23, s30
	s_add_u32 s37, s39, s37
	s_addc_u32 s31, 0, s31
	s_add_u32 s30, s37, s30
	s_addc_u32 s30, s31, s40
	s_addc_u32 s31, s38, 0
	s_add_u32 s30, s30, s27
	s_addc_u32 s31, 0, s31
	s_mul_hi_u32 s27, s28, s30
	s_mul_i32 s38, s28, s31
	s_mul_i32 s39, s28, s30
	s_add_i32 s27, s27, s38
	v_sub_co_u32 v1, s38, s22, s39
	s_mul_i32 s37, s29, s30
	s_delay_alu instid0(SALU_CYCLE_1) | instskip(NEXT) | instid1(VALU_DEP_1)
	s_add_i32 s27, s27, s37
	v_sub_co_u32 v2, s39, v1, s28
	s_sub_i32 s37, s23, s27
	s_cmp_lg_u32 s38, 0
	s_subb_u32 s37, s37, s29
	s_cmp_lg_u32 s39, 0
	v_readfirstlane_b32 s39, v2
	s_subb_u32 s37, s37, 0
	s_delay_alu instid0(SALU_CYCLE_1) | instskip(SKIP_1) | instid1(VALU_DEP_1)
	s_cmp_ge_u32 s37, s29
	s_cselect_b32 s40, -1, 0
	s_cmp_ge_u32 s39, s28
	s_cselect_b32 s39, -1, 0
	s_cmp_eq_u32 s37, s29
	s_cselect_b32 s37, s39, s40
	s_add_u32 s39, s30, 1
	s_addc_u32 s40, s31, 0
	s_add_u32 s41, s30, 2
	s_addc_u32 s42, s31, 0
	s_cmp_lg_u32 s37, 0
	s_cselect_b32 s37, s41, s39
	s_cselect_b32 s39, s42, s40
	s_cmp_lg_u32 s38, 0
	v_readfirstlane_b32 s38, v1
	s_subb_u32 s27, s23, s27
	s_delay_alu instid0(SALU_CYCLE_1) | instskip(SKIP_1) | instid1(VALU_DEP_1)
	s_cmp_ge_u32 s27, s29
	s_cselect_b32 s40, -1, 0
	s_cmp_ge_u32 s38, s28
	s_cselect_b32 s38, -1, 0
	s_cmp_eq_u32 s27, s29
	s_cselect_b32 s27, s38, s40
	s_delay_alu instid0(SALU_CYCLE_1)
	s_cmp_lg_u32 s27, 0
	s_mov_b32 s27, 0
	s_cselect_b32 s31, s39, s31
	s_cselect_b32 s30, s37, s30
.LBB0_6:                                ;   in Loop: Header=BB0_4 Depth=1
	s_and_not1_b32 vcc_lo, exec_lo, s27
	s_cbranch_vccnz .LBB0_8
; %bb.7:                                ;   in Loop: Header=BB0_4 Depth=1
	v_cvt_f32_u32_e32 v1, s28
	s_sub_i32 s30, 0, s28
	s_waitcnt_depctr 0xfff
	v_rcp_iflag_f32_e32 v1, v1
	s_waitcnt_depctr 0xfff
	v_mul_f32_e32 v1, 0x4f7ffffe, v1
	s_delay_alu instid0(VALU_DEP_1) | instskip(NEXT) | instid1(VALU_DEP_1)
	v_cvt_u32_f32_e32 v1, v1
	v_readfirstlane_b32 s27, v1
	s_delay_alu instid0(VALU_DEP_1) | instskip(NEXT) | instid1(SALU_CYCLE_1)
	s_mul_i32 s30, s30, s27
	s_mul_hi_u32 s30, s27, s30
	s_delay_alu instid0(SALU_CYCLE_1) | instskip(NEXT) | instid1(SALU_CYCLE_1)
	s_add_i32 s27, s27, s30
	s_mul_hi_u32 s27, s22, s27
	s_delay_alu instid0(SALU_CYCLE_1) | instskip(SKIP_2) | instid1(SALU_CYCLE_1)
	s_mul_i32 s30, s27, s28
	s_add_i32 s31, s27, 1
	s_sub_i32 s30, s22, s30
	s_sub_i32 s37, s30, s28
	s_cmp_ge_u32 s30, s28
	s_cselect_b32 s27, s31, s27
	s_cselect_b32 s30, s37, s30
	s_add_i32 s31, s27, 1
	s_cmp_ge_u32 s30, s28
	s_cselect_b32 s30, s31, s27
	s_mov_b32 s31, s26
.LBB0_8:                                ;   in Loop: Header=BB0_4 Depth=1
	s_load_b64 s[38:39], s[0:1], 0x0
	s_mul_i32 s19, s28, s19
	s_mul_hi_u32 s27, s28, s18
	s_mul_i32 s37, s29, s18
	s_mul_i32 s29, s30, s29
	s_mul_hi_u32 s40, s30, s28
	s_mul_i32 s41, s31, s28
	s_add_i32 s19, s27, s19
	s_add_i32 s27, s40, s29
	s_mul_i32 s42, s30, s28
	s_add_i32 s19, s19, s37
	s_add_i32 s27, s27, s41
	s_sub_u32 s22, s22, s42
	s_subb_u32 s23, s23, s27
	s_mul_i32 s18, s28, s18
	s_waitcnt lgkmcnt(0)
	s_mul_i32 s23, s38, s23
	s_mul_hi_u32 s27, s38, s22
	s_delay_alu instid0(SALU_CYCLE_1)
	s_add_i32 s23, s27, s23
	s_mul_i32 s27, s39, s22
	s_mul_i32 s22, s38, s22
	s_add_i32 s23, s23, s27
	s_add_u32 s36, s22, s36
	s_addc_u32 s35, s23, s35
	s_add_u32 s24, s24, 1
	s_addc_u32 s25, s25, 0
	s_add_u32 s0, s0, 8
	v_cmp_ge_u64_e64 s22, s[24:25], s[20:21]
	s_addc_u32 s1, s1, 0
	s_add_u32 s8, s8, 8
	s_addc_u32 s9, s9, 0
	s_delay_alu instid0(VALU_DEP_1)
	s_and_b32 vcc_lo, exec_lo, s22
	s_cbranch_vccnz .LBB0_10
; %bb.9:                                ;   in Loop: Header=BB0_4 Depth=1
	s_mov_b64 s[22:23], s[30:31]
	s_branch .LBB0_4
.LBB0_10:
	v_cmp_lt_u64_e64 s0, s[16:17], s[18:19]
	s_mov_b64 s[22:23], 0
	s_delay_alu instid0(VALU_DEP_1)
	s_and_b32 vcc_lo, exec_lo, s0
	s_cbranch_vccnz .LBB0_12
; %bb.11:
	v_cvt_f32_u32_e32 v1, s18
	s_sub_i32 s1, 0, s18
	s_delay_alu instid0(VALU_DEP_1) | instskip(SKIP_2) | instid1(VALU_DEP_1)
	v_rcp_iflag_f32_e32 v1, v1
	s_waitcnt_depctr 0xfff
	v_mul_f32_e32 v1, 0x4f7ffffe, v1
	v_cvt_u32_f32_e32 v1, v1
	s_delay_alu instid0(VALU_DEP_1) | instskip(NEXT) | instid1(VALU_DEP_1)
	v_readfirstlane_b32 s0, v1
	s_mul_i32 s1, s1, s0
	s_delay_alu instid0(SALU_CYCLE_1) | instskip(NEXT) | instid1(SALU_CYCLE_1)
	s_mul_hi_u32 s1, s0, s1
	s_add_i32 s0, s0, s1
	s_delay_alu instid0(SALU_CYCLE_1) | instskip(NEXT) | instid1(SALU_CYCLE_1)
	s_mul_hi_u32 s0, s16, s0
	s_mul_i32 s1, s0, s18
	s_add_i32 s8, s0, 1
	s_sub_i32 s1, s16, s1
	s_delay_alu instid0(SALU_CYCLE_1)
	s_sub_i32 s9, s1, s18
	s_cmp_ge_u32 s1, s18
	s_cselect_b32 s0, s8, s0
	s_cselect_b32 s1, s9, s1
	s_add_i32 s8, s0, 1
	s_cmp_ge_u32 s1, s18
	s_cselect_b32 s22, s8, s0
.LBB0_12:
	v_mul_u32_u24_e32 v1, 0x1556, v0
	s_lshl_b64 s[0:1], s[20:21], 3
	v_mov_b32_e32 v3, 0
	s_add_u32 s0, s10, s0
	s_addc_u32 s1, s11, s1
	v_lshrrev_b32_e32 v42, 16, v1
	s_load_b64 s[0:1], s[0:1], 0x0
	v_mov_b32_e32 v2, 0
	s_delay_alu instid0(VALU_DEP_2) | instskip(NEXT) | instid1(VALU_DEP_1)
	v_mul_lo_u16 v1, v42, 12
	v_sub_nc_u16 v1, v0, v1
	s_delay_alu instid0(VALU_DEP_1) | instskip(NEXT) | instid1(VALU_DEP_1)
	v_and_b32_e32 v15, 0xffff, v1
	v_mad_u64_u32 v[16:17], null, s6, v15, 0
	v_mov_b32_e32 v4, 0
	s_waitcnt lgkmcnt(0)
	s_mul_i32 s1, s1, s22
	s_mul_hi_u32 s6, s0, s22
	s_mul_i32 s0, s0, s22
	v_add_co_u32 v5, s8, s34, v15
	s_delay_alu instid0(VALU_DEP_3) | instskip(SKIP_3) | instid1(VALU_DEP_2)
	v_mov_b32_e32 v1, v17
	s_add_i32 s1, s6, s1
	v_add_co_ci_u32_e64 v6, null, s33, 0, s8
	s_add_u32 s6, s0, s36
	v_mad_u64_u32 v[7:8], null, s7, v15, v[1:2]
	s_addc_u32 s7, s1, s35
	s_add_u32 s10, s34, 12
	s_addc_u32 s11, s33, 0
	v_cmp_gt_u64_e64 s1, s[2:3], v[5:6]
	v_cmp_le_u64_e64 s8, s[10:11], s[2:3]
	v_cmp_gt_u64_e64 s3, s[10:11], s[2:3]
	s_delay_alu instid0(VALU_DEP_4) | instskip(NEXT) | instid1(VALU_DEP_3)
	v_mov_b32_e32 v17, v7
	s_or_b32 s0, s8, s1
	s_delay_alu instid0(SALU_CYCLE_1)
	s_and_saveexec_b32 s2, s0
	s_cbranch_execz .LBB0_14
; %bb.13:
	v_mul_lo_u32 v1, s4, v42
	v_mov_b32_e32 v4, 0
	s_delay_alu instid0(VALU_DEP_2) | instskip(NEXT) | instid1(VALU_DEP_1)
	v_add3_u32 v3, s6, v16, v1
	v_lshlrev_b64 v[3:4], 3, v[3:4]
	s_delay_alu instid0(VALU_DEP_1) | instskip(NEXT) | instid1(VALU_DEP_2)
	v_add_co_u32 v3, vcc_lo, s12, v3
	v_add_co_ci_u32_e32 v4, vcc_lo, s13, v4, vcc_lo
	global_load_b64 v[3:4], v[3:4], off
.LBB0_14:
	s_or_b32 exec_lo, exec_lo, s2
	v_add_nc_u32_e32 v43, 40, v42
	v_mov_b32_e32 v1, 0
	s_and_saveexec_b32 s2, s0
	s_cbranch_execz .LBB0_16
; %bb.15:
	s_delay_alu instid0(VALU_DEP_2) | instskip(SKIP_1) | instid1(VALU_DEP_2)
	v_mul_lo_u32 v1, s4, v43
	v_mov_b32_e32 v2, 0
	v_add3_u32 v1, s6, v16, v1
	s_delay_alu instid0(VALU_DEP_1) | instskip(NEXT) | instid1(VALU_DEP_1)
	v_lshlrev_b64 v[1:2], 3, v[1:2]
	v_add_co_u32 v1, vcc_lo, s12, v1
	s_delay_alu instid0(VALU_DEP_2)
	v_add_co_ci_u32_e32 v2, vcc_lo, s13, v2, vcc_lo
	global_load_b64 v[1:2], v[1:2], off
.LBB0_16:
	s_or_b32 exec_lo, exec_lo, s2
	v_dual_mov_b32 v6, 0 :: v_dual_mov_b32 v7, 0
	v_add_nc_u32_e32 v44, 0x50, v42
	v_mov_b32_e32 v8, 0
	s_and_saveexec_b32 s2, s0
	s_cbranch_execz .LBB0_18
; %bb.17:
	s_delay_alu instid0(VALU_DEP_2) | instskip(SKIP_1) | instid1(VALU_DEP_2)
	v_mul_lo_u32 v5, s4, v44
	v_mov_b32_e32 v8, 0
	v_add3_u32 v7, s6, v16, v5
	s_delay_alu instid0(VALU_DEP_1) | instskip(NEXT) | instid1(VALU_DEP_1)
	v_lshlrev_b64 v[7:8], 3, v[7:8]
	v_add_co_u32 v7, vcc_lo, s12, v7
	s_delay_alu instid0(VALU_DEP_2)
	v_add_co_ci_u32_e32 v8, vcc_lo, s13, v8, vcc_lo
	global_load_b64 v[7:8], v[7:8], off
.LBB0_18:
	s_or_b32 exec_lo, exec_lo, s2
	v_add_nc_u32_e32 v45, 0x78, v42
	v_mov_b32_e32 v5, 0
	s_and_saveexec_b32 s2, s0
	s_cbranch_execz .LBB0_20
; %bb.19:
	s_delay_alu instid0(VALU_DEP_2) | instskip(SKIP_1) | instid1(VALU_DEP_2)
	v_mul_lo_u32 v5, s4, v45
	v_mov_b32_e32 v6, 0
	v_add3_u32 v5, s6, v16, v5
	s_delay_alu instid0(VALU_DEP_1) | instskip(NEXT) | instid1(VALU_DEP_1)
	v_lshlrev_b64 v[5:6], 3, v[5:6]
	v_add_co_u32 v5, vcc_lo, s12, v5
	s_delay_alu instid0(VALU_DEP_2)
	v_add_co_ci_u32_e32 v6, vcc_lo, s13, v6, vcc_lo
	global_load_b64 v[5:6], v[5:6], off
.LBB0_20:
	s_or_b32 exec_lo, exec_lo, s2
	v_dual_mov_b32 v11, 0 :: v_dual_add_nc_u32 v46, 16, v42
	v_mov_b32_e32 v10, 0
	v_mov_b32_e32 v12, 0
	s_and_saveexec_b32 s2, s0
	s_cbranch_execz .LBB0_22
; %bb.21:
	v_mul_lo_u32 v9, s4, v46
	v_mov_b32_e32 v12, 0
	s_delay_alu instid0(VALU_DEP_2) | instskip(NEXT) | instid1(VALU_DEP_1)
	v_add3_u32 v11, s6, v16, v9
	v_lshlrev_b64 v[11:12], 3, v[11:12]
	s_delay_alu instid0(VALU_DEP_1) | instskip(NEXT) | instid1(VALU_DEP_2)
	v_add_co_u32 v11, vcc_lo, s12, v11
	v_add_co_ci_u32_e32 v12, vcc_lo, s13, v12, vcc_lo
	global_load_b64 v[11:12], v[11:12], off
.LBB0_22:
	s_or_b32 exec_lo, exec_lo, s2
	v_mov_b32_e32 v9, 0
	s_and_saveexec_b32 s2, s0
	s_cbranch_execz .LBB0_24
; %bb.23:
	v_dual_mov_b32 v10, 0 :: v_dual_add_nc_u32 v9, 56, v42
	s_delay_alu instid0(VALU_DEP_1) | instskip(NEXT) | instid1(VALU_DEP_1)
	v_mul_lo_u32 v9, s4, v9
	v_add3_u32 v9, s6, v16, v9
	s_delay_alu instid0(VALU_DEP_1) | instskip(NEXT) | instid1(VALU_DEP_1)
	v_lshlrev_b64 v[9:10], 3, v[9:10]
	v_add_co_u32 v9, vcc_lo, s12, v9
	s_delay_alu instid0(VALU_DEP_2)
	v_add_co_ci_u32_e32 v10, vcc_lo, s13, v10, vcc_lo
	global_load_b64 v[9:10], v[9:10], off
.LBB0_24:
	s_or_b32 exec_lo, exec_lo, s2
	v_dual_mov_b32 v14, 0 :: v_dual_mov_b32 v27, 0
	v_mov_b32_e32 v26, 0
	s_and_saveexec_b32 s2, s0
	s_cbranch_execz .LBB0_26
; %bb.25:
	v_or_b32_e32 v13, 0x60, v42
	v_mov_b32_e32 v19, 0
	s_delay_alu instid0(VALU_DEP_2) | instskip(NEXT) | instid1(VALU_DEP_1)
	v_mul_lo_u32 v13, s4, v13
	v_add3_u32 v18, s6, v16, v13
	s_delay_alu instid0(VALU_DEP_1) | instskip(NEXT) | instid1(VALU_DEP_1)
	v_lshlrev_b64 v[18:19], 3, v[18:19]
	v_add_co_u32 v18, vcc_lo, s12, v18
	s_delay_alu instid0(VALU_DEP_2)
	v_add_co_ci_u32_e32 v19, vcc_lo, s13, v19, vcc_lo
	global_load_b64 v[26:27], v[18:19], off
.LBB0_26:
	s_or_b32 exec_lo, exec_lo, s2
	v_mov_b32_e32 v13, 0
	s_and_saveexec_b32 s2, s0
	s_cbranch_execz .LBB0_28
; %bb.27:
	v_dual_mov_b32 v14, 0 :: v_dual_add_nc_u32 v13, 0x88, v42
	s_delay_alu instid0(VALU_DEP_1) | instskip(NEXT) | instid1(VALU_DEP_1)
	v_mul_lo_u32 v13, s4, v13
	v_add3_u32 v13, s6, v16, v13
	s_delay_alu instid0(VALU_DEP_1) | instskip(NEXT) | instid1(VALU_DEP_1)
	v_lshlrev_b64 v[13:14], 3, v[13:14]
	v_add_co_u32 v13, vcc_lo, s12, v13
	s_delay_alu instid0(VALU_DEP_2)
	v_add_co_ci_u32_e32 v14, vcc_lo, s13, v14, vcc_lo
	global_load_b64 v[13:14], v[13:14], off
.LBB0_28:
	s_or_b32 exec_lo, exec_lo, s2
	v_or_b32_e32 v40, 32, v42
	v_cmp_gt_u32_e64 s0, 0x60, v0
	v_cmp_lt_u32_e32 vcc_lo, 0x5f, v0
	v_cndmask_b32_e64 v21, 0, 1, s1
	v_mov_b32_e32 v31, 0
	v_mad_u64_u32 v[18:19], null, s4, v40, 0
	v_cndmask_b32_e64 v20, 0, 1, s0
	s_or_b32 vcc_lo, vcc_lo, s8
	v_dual_mov_b32 v29, 0 :: v_dual_mov_b32 v30, 0
	s_delay_alu instid0(VALU_DEP_2) | instskip(NEXT) | instid1(VALU_DEP_4)
	v_cndmask_b32_e32 v22, v21, v20, vcc_lo
	v_mad_u64_u32 v[20:21], null, s5, v40, v[19:20]
	s_delay_alu instid0(VALU_DEP_2) | instskip(NEXT) | instid1(VALU_DEP_1)
	v_and_b32_e32 v19, 1, v22
	v_cmp_eq_u32_e32 vcc_lo, 1, v19
	s_delay_alu instid0(VALU_DEP_3)
	v_mov_b32_e32 v19, v20
	s_and_saveexec_b32 s8, vcc_lo
	s_cbranch_execz .LBB0_30
; %bb.29:
	v_add3_u32 v20, s6, v16, v18
	v_mov_b32_e32 v21, 0
	s_delay_alu instid0(VALU_DEP_1) | instskip(NEXT) | instid1(VALU_DEP_1)
	v_lshlrev_b64 v[20:21], 3, v[20:21]
	v_add_co_u32 v20, s2, s12, v20
	s_delay_alu instid0(VALU_DEP_1)
	v_add_co_ci_u32_e64 v21, s2, s13, v21, s2
	global_load_b64 v[30:31], v[20:21], off
.LBB0_30:
	s_or_b32 exec_lo, exec_lo, s8
	v_add_nc_u32_e32 v24, 0x48, v42
	v_mov_b32_e32 v28, 0
	s_delay_alu instid0(VALU_DEP_2) | instskip(NEXT) | instid1(VALU_DEP_1)
	v_mad_u64_u32 v[20:21], null, s4, v24, 0
	v_mad_u64_u32 v[22:23], null, s5, v24, v[21:22]
	s_delay_alu instid0(VALU_DEP_1)
	v_mov_b32_e32 v21, v22
	s_and_saveexec_b32 s8, vcc_lo
	s_cbranch_execz .LBB0_32
; %bb.31:
	s_delay_alu instid0(VALU_DEP_3) | instskip(SKIP_1) | instid1(VALU_DEP_1)
	v_add3_u32 v22, s6, v16, v20
	v_mov_b32_e32 v23, 0
	v_lshlrev_b64 v[22:23], 3, v[22:23]
	s_delay_alu instid0(VALU_DEP_1) | instskip(NEXT) | instid1(VALU_DEP_1)
	v_add_co_u32 v22, s2, s12, v22
	v_add_co_ci_u32_e64 v23, s2, s13, v23, s2
	global_load_b64 v[28:29], v[22:23], off
.LBB0_32:
	s_or_b32 exec_lo, exec_lo, s8
	v_dual_mov_b32 v33, 0 :: v_dual_add_nc_u32 v32, 0x70, v42
	v_dual_mov_b32 v35, 0 :: v_dual_mov_b32 v34, 0
	s_delay_alu instid0(VALU_DEP_2) | instskip(NEXT) | instid1(VALU_DEP_1)
	v_mad_u64_u32 v[22:23], null, s4, v32, 0
	v_mad_u64_u32 v[24:25], null, s5, v32, v[23:24]
	s_delay_alu instid0(VALU_DEP_1)
	v_mov_b32_e32 v23, v24
	s_and_saveexec_b32 s8, vcc_lo
	s_cbranch_execz .LBB0_34
; %bb.33:
	s_delay_alu instid0(VALU_DEP_3) | instskip(SKIP_1) | instid1(VALU_DEP_1)
	v_add3_u32 v24, s6, v16, v22
	v_mov_b32_e32 v25, 0
	v_lshlrev_b64 v[24:25], 3, v[24:25]
	s_delay_alu instid0(VALU_DEP_1) | instskip(NEXT) | instid1(VALU_DEP_1)
	v_add_co_u32 v24, s2, s12, v24
	v_add_co_ci_u32_e64 v25, s2, s13, v25, s2
	global_load_b64 v[34:35], v[24:25], off
.LBB0_34:
	s_or_b32 exec_lo, exec_lo, s8
	v_add_nc_u32_e32 v32, 0x98, v42
	s_delay_alu instid0(VALU_DEP_1) | instskip(SKIP_1) | instid1(VALU_DEP_1)
	v_mad_u64_u32 v[24:25], null, s4, v32, 0
	s_waitcnt vmcnt(0)
	v_mad_u64_u32 v[36:37], null, s5, v32, v[25:26]
	s_delay_alu instid0(VALU_DEP_1)
	v_dual_mov_b32 v32, 0 :: v_dual_mov_b32 v25, v36
	s_and_saveexec_b32 s2, vcc_lo
	s_cbranch_execz .LBB0_36
; %bb.35:
	s_delay_alu instid0(VALU_DEP_3) | instskip(SKIP_1) | instid1(VALU_DEP_1)
	v_add3_u32 v32, s6, v16, v24
	v_mov_b32_e32 v33, 0
	v_lshlrev_b64 v[32:33], 3, v[32:33]
	s_delay_alu instid0(VALU_DEP_1) | instskip(NEXT) | instid1(VALU_DEP_2)
	v_add_co_u32 v32, vcc_lo, s12, v32
	v_add_co_ci_u32_e32 v33, vcc_lo, s13, v33, vcc_lo
	global_load_b64 v[32:33], v[32:33], off
.LBB0_36:
	s_or_b32 exec_lo, exec_lo, s2
	v_dual_sub_f32 v7, v3, v7 :: v_dual_sub_f32 v6, v2, v6
	v_dual_sub_f32 v5, v1, v5 :: v_dual_sub_f32 v26, v11, v26
	;; [unrolled: 1-line block ×3, first 2 shown]
	s_delay_alu instid0(VALU_DEP_3) | instskip(NEXT) | instid1(VALU_DEP_3)
	v_fma_f32 v3, v3, 2.0, -v7
	v_fma_f32 v1, v1, 2.0, -v5
	v_sub_f32_e32 v39, v4, v8
	v_fma_f32 v2, v2, 2.0, -v6
	v_fma_f32 v41, v11, 2.0, -v26
	v_cmp_gt_u32_e32 vcc_lo, 0x60, v0
	v_sub_f32_e32 v36, v3, v1
	v_fma_f32 v4, v4, 2.0, -v39
	v_sub_f32_e32 v1, v9, v13
	v_fma_f32 v13, v10, 2.0, -v14
	;; [unrolled: 2-line block ×3, first 2 shown]
	s_delay_alu instid0(VALU_DEP_4) | instskip(SKIP_4) | instid1(VALU_DEP_4)
	v_dual_sub_f32 v47, v26, v14 :: v_dual_add_f32 v48, v27, v1
	v_fma_f32 v3, v9, 2.0, -v1
	v_sub_f32_e32 v37, v4, v2
	v_fma_f32 v2, v12, 2.0, -v27
	v_mul_u32_u24_e32 v1, 48, v42
	v_dual_add_f32 v11, v39, v5 :: v_dual_sub_f32 v12, v41, v3
	s_delay_alu instid0(VALU_DEP_4)
	v_fma_f32 v9, v4, 2.0, -v37
	v_sub_f32_e32 v4, v30, v34
	s_waitcnt vmcnt(0)
	v_dual_sub_f32 v13, v2, v13 :: v_dual_sub_f32 v14, v28, v32
	v_dual_sub_f32 v5, v31, v35 :: v_dual_sub_f32 v32, v29, v33
	v_fma_f32 v38, v7, 2.0, -v10
	s_delay_alu instid0(VALU_DEP_3)
	v_fma_f32 v50, v2, 2.0, -v13
	v_lshl_add_u32 v2, v1, 3, 0
	v_fma_f32 v51, v26, 2.0, -v47
	v_fma_f32 v6, v30, 2.0, -v4
	;; [unrolled: 1-line block ×5, first 2 shown]
	v_lshlrev_b32_e32 v1, 3, v15
	v_add_nc_u32_e32 v3, 0x1800, v2
	v_fma_f32 v39, v39, 2.0, -v11
	v_fma_f32 v52, v27, 2.0, -v48
	v_dual_sub_f32 v26, v6, v26 :: v_dual_sub_f32 v27, v7, v28
	v_add_nc_u32_e32 v30, v2, v1
	v_dual_sub_f32 v28, v4, v32 :: v_dual_add_f32 v29, v5, v14
	v_fma_f32 v49, v41, 2.0, -v12
	v_add_nc_u32_e32 v31, v3, v1
	ds_store_2addr_b64 v30, v[8:9], v[38:39] offset1:12
	ds_store_2addr_b64 v30, v[36:37], v[10:11] offset0:24 offset1:36
	ds_store_2addr_b64 v31, v[49:50], v[51:52] offset1:12
	ds_store_2addr_b64 v31, v[12:13], v[47:48] offset0:24 offset1:36
	s_and_saveexec_b32 s2, vcc_lo
	s_cbranch_execz .LBB0_38
; %bb.37:
	v_lshl_add_u32 v0, v15, 3, v3
	v_fma_f32 v5, v5, 2.0, -v29
	v_fma_f32 v4, v4, 2.0, -v28
	;; [unrolled: 1-line block ×4, first 2 shown]
	v_add_nc_u32_e32 v0, 0x1800, v0
	ds_store_2addr_b64 v0, v[6:7], v[4:5] offset1:12
	ds_store_2addr_b64 v0, v[26:27], v[28:29] offset0:24 offset1:36
.LBB0_38:
	s_or_b32 exec_lo, exec_lo, s2
	v_and_b32_e32 v41, 3, v42
	s_waitcnt lgkmcnt(0)
	s_barrier
	buffer_gl0_inv
	v_mul_i32_i24_e32 v34, 0xfffffee0, v42
	v_mul_u32_u24_e32 v0, 9, v41
	v_lshrrev_b32_e32 v35, 2, v42
	s_mov_b32 s2, 0
	s_delay_alu instid0(VALU_DEP_2)
	v_lshlrev_b32_e32 v0, 3, v0
	s_clause 0x4
	global_load_b128 v[4:7], v0, s[14:15]
	global_load_b128 v[8:11], v0, s[14:15] offset:16
	global_load_b128 v[12:15], v0, s[14:15] offset:32
	;; [unrolled: 1-line block ×3, first 2 shown]
	global_load_b64 v[38:39], v0, s[14:15] offset:64
	v_mul_i32_i24_e32 v0, 0xfffffee0, v46
	s_delay_alu instid0(VALU_DEP_1)
	v_add3_u32 v3, v3, v0, v1
	v_add3_u32 v0, v2, v34, v1
	v_mul_u32_u24_e32 v2, 40, v35
	ds_load_2addr_stride64_b64 v[34:37], v3 offset1:3
	ds_load_2addr_stride64_b64 v[47:50], v0 offset1:9
	ds_load_2addr_stride64_b64 v[51:54], v0 offset0:12 offset1:15
	v_or_b32_e32 v2, v2, v41
	ds_load_2addr_stride64_b64 v[55:58], v0 offset0:18 offset1:21
	ds_load_2addr_stride64_b64 v[59:62], v0 offset0:24 offset1:27
	v_add_nc_u32_e32 v63, 0x100, v0
	s_waitcnt vmcnt(0) lgkmcnt(0)
	s_barrier
	v_mul_u32_u24_e32 v2, 0x60, v2
	buffer_gl0_inv
	v_add3_u32 v41, 0, v2, v1
	s_delay_alu instid0(VALU_DEP_1) | instskip(SKIP_4) | instid1(VALU_DEP_4)
	v_dual_mul_f32 v65, v5, v34 :: v_dual_add_nc_u32 v64, 0x800, v41
	v_dual_mul_f32 v1, v5, v35 :: v_dual_mul_f32 v2, v7, v37
	v_dual_mul_f32 v5, v7, v36 :: v_dual_mul_f32 v70, v60, v33
	;; [unrolled: 1-line block ×3, first 2 shown]
	v_mul_f32_e32 v68, v56, v15
	v_fma_f32 v34, v4, v34, -v1
	v_fma_f32 v1, v6, v36, -v2
	s_delay_alu instid0(VALU_DEP_4)
	v_fma_f32 v2, v8, v49, -v7
	v_fmac_f32_e32 v65, v4, v35
	v_fma_f32 v4, v10, v51, -v66
	v_mul_f32_e32 v15, v55, v15
	v_fma_f32 v7, v55, v14, -v68
	v_mul_f32_e32 v9, v9, v49
	v_mul_f32_e32 v67, v13, v54
	s_delay_alu instid0(VALU_DEP_4) | instskip(SKIP_4) | instid1(VALU_DEP_3)
	v_dual_sub_f32 v36, v1, v4 :: v_dual_fmac_f32 v15, v56, v14
	v_fmac_f32_e32 v5, v6, v37
	v_mul_f32_e32 v33, v59, v33
	v_dual_fmac_f32 v9, v8, v50 :: v_dual_add_f32 v14, v47, v1
	v_fma_f32 v6, v12, v53, -v67
	v_fmac_f32_e32 v33, v60, v32
	s_delay_alu instid0(VALU_DEP_2) | instskip(NEXT) | instid1(VALU_DEP_1)
	v_dual_mul_f32 v11, v11, v51 :: v_dual_sub_f32 v68, v6, v2
	v_fmac_f32_e32 v11, v10, v52
	v_fma_f32 v10, v59, v32, -v70
	v_mul_f32_e32 v13, v13, v53
	v_mul_f32_e32 v69, v58, v31
	;; [unrolled: 1-line block ×3, first 2 shown]
	v_add_f32_e32 v52, v11, v15
	v_dual_mul_f32 v71, v62, v39 :: v_dual_add_f32 v56, v5, v33
	v_mul_f32_e32 v39, v61, v39
	v_dual_sub_f32 v37, v10, v7 :: v_dual_sub_f32 v50, v7, v10
	v_fmac_f32_e32 v13, v12, v54
	s_delay_alu instid0(VALU_DEP_4) | instskip(NEXT) | instid1(VALU_DEP_4)
	v_fma_f32 v12, v61, v38, -v71
	v_fmac_f32_e32 v39, v62, v38
	v_add_f32_e32 v38, v1, v10
	v_fma_f32 v8, v57, v30, -v69
	v_dual_fmac_f32 v31, v58, v30 :: v_dual_add_f32 v30, v4, v7
	v_dual_add_f32 v51, v48, v5 :: v_dual_add_f32 v58, v34, v2
	v_dual_sub_f32 v53, v4, v7 :: v_dual_sub_f32 v62, v2, v6
	s_delay_alu instid0(VALU_DEP_4)
	v_sub_f32_e32 v66, v12, v8
	v_dual_sub_f32 v49, v4, v1 :: v_dual_sub_f32 v72, v6, v8
	v_add_f32_e32 v4, v14, v4
	v_add_f32_e32 v59, v6, v8
	v_fma_f32 v77, -0.5, v30, v47
	v_add_f32_e32 v14, v36, v37
	v_sub_f32_e32 v74, v39, v31
	v_add_f32_e32 v4, v4, v7
	v_sub_f32_e32 v32, v5, v33
	v_sub_f32_e32 v55, v33, v15
	;; [unrolled: 1-line block ×3, first 2 shown]
	v_fma_f32 v30, -0.5, v38, v47
	v_add_f32_e32 v67, v2, v12
	v_sub_f32_e32 v2, v2, v12
	v_sub_f32_e32 v60, v9, v39
	v_dual_sub_f32 v35, v11, v15 :: v_dual_add_f32 v36, v49, v50
	v_sub_f32_e32 v54, v5, v11
	v_sub_f32_e32 v1, v1, v10
	v_fma_f32 v37, -0.5, v52, v48
	v_fma_f32 v47, -0.5, v56, v48
	v_add_f32_e32 v6, v58, v6
	v_add_f32_e32 v38, v54, v55
	v_fma_f32 v48, -0.5, v59, v34
	v_fmamk_f32 v55, v35, 0xbf737871, v30
	v_dual_fmac_f32 v30, 0x3f737871, v35 :: v_dual_sub_f32 v5, v11, v5
	v_fmac_f32_e32 v34, -0.5, v67
	v_add_f32_e32 v11, v51, v11
	v_dual_sub_f32 v69, v8, v12 :: v_dual_fmamk_f32 v56, v53, 0x3f737871, v47
	v_add_f32_e32 v70, v65, v9
	v_dual_sub_f32 v61, v13, v31 :: v_dual_add_f32 v6, v6, v8
	v_dual_add_f32 v71, v13, v31 :: v_dual_fmamk_f32 v8, v60, 0x3f737871, v48
	v_dual_sub_f32 v73, v9, v13 :: v_dual_fmac_f32 v48, 0xbf737871, v60
	v_dual_sub_f32 v57, v15, v33 :: v_dual_fmamk_f32 v54, v32, 0x3f737871, v77
	v_fmac_f32_e32 v30, 0xbf167918, v32
	s_delay_alu instid0(VALU_DEP_3) | instskip(NEXT) | instid1(VALU_DEP_4)
	v_dual_add_f32 v52, v73, v74 :: v_dual_add_f32 v7, v11, v15
	v_dual_fmac_f32 v48, 0xbf167918, v61 :: v_dual_add_f32 v75, v9, v39
	v_dual_sub_f32 v9, v13, v9 :: v_dual_add_f32 v4, v4, v10
	v_dual_add_f32 v5, v5, v57 :: v_dual_fmac_f32 v54, 0x3f167918, v35
	s_delay_alu instid0(VALU_DEP_4) | instskip(SKIP_2) | instid1(VALU_DEP_4)
	v_dual_add_f32 v7, v7, v33 :: v_dual_fmac_f32 v30, 0x3e9e377a, v36
	v_fmamk_f32 v11, v61, 0xbf737871, v34
	v_fmac_f32_e32 v34, 0x3f737871, v61
	v_dual_add_f32 v13, v70, v13 :: v_dual_fmac_f32 v54, 0x3e9e377a, v14
	v_dual_add_f32 v49, v62, v66 :: v_dual_fmac_f32 v56, 0xbf167918, v1
	s_delay_alu instid0(VALU_DEP_2) | instskip(SKIP_2) | instid1(VALU_DEP_4)
	v_dual_fmac_f32 v34, 0xbf167918, v60 :: v_dual_add_f32 v13, v13, v31
	v_fmac_f32_e32 v77, 0xbf737871, v32
	v_fma_f32 v51, -0.5, v71, v65
	v_dual_fmac_f32 v56, 0x3e9e377a, v5 :: v_dual_add_f32 v9, v9, v76
	v_fmac_f32_e32 v8, 0x3f167918, v61
	v_add_f32_e32 v10, v13, v39
	v_fmac_f32_e32 v77, 0xbf167918, v35
	v_fmac_f32_e32 v47, 0xbf737871, v53
	v_dual_add_f32 v50, v68, v69 :: v_dual_fmac_f32 v65, -0.5, v75
	s_delay_alu instid0(VALU_DEP_3) | instskip(SKIP_2) | instid1(VALU_DEP_4)
	v_dual_add_f32 v6, v6, v12 :: v_dual_fmac_f32 v77, 0x3e9e377a, v14
	v_fmamk_f32 v31, v2, 0xbf737871, v51
	v_fmac_f32_e32 v8, 0x3e9e377a, v49
	v_fmac_f32_e32 v34, 0x3e9e377a, v50
	v_fmamk_f32 v15, v1, 0xbf737871, v37
	v_fmac_f32_e32 v48, 0x3e9e377a, v49
	v_fmac_f32_e32 v31, 0xbf167918, v72
	s_delay_alu instid0(VALU_DEP_1) | instskip(NEXT) | instid1(VALU_DEP_1)
	v_fmac_f32_e32 v31, 0x3e9e377a, v52
	v_dual_fmac_f32 v47, 0x3f167918, v1 :: v_dual_mul_f32 v14, 0x3f167918, v31
	s_delay_alu instid0(VALU_DEP_1) | instskip(NEXT) | instid1(VALU_DEP_2)
	v_fmac_f32_e32 v47, 0x3e9e377a, v5
	v_dual_sub_f32 v5, v7, v10 :: v_dual_fmac_f32 v14, 0x3f4f1bbd, v8
	v_fmamk_f32 v57, v72, 0x3f737871, v65
	v_fmac_f32_e32 v65, 0xbf737871, v72
	v_fmac_f32_e32 v37, 0x3f737871, v1
	v_add_f32_e32 v1, v4, v6
	v_dual_sub_f32 v4, v4, v6 :: v_dual_fmac_f32 v55, 0x3f167918, v32
	s_delay_alu instid0(VALU_DEP_4) | instskip(NEXT) | instid1(VALU_DEP_2)
	v_fmac_f32_e32 v65, 0x3f167918, v2
	v_dual_mul_f32 v6, 0x3e9e377a, v34 :: v_dual_fmac_f32 v55, 0x3e9e377a, v36
	s_delay_alu instid0(VALU_DEP_2) | instskip(NEXT) | instid1(VALU_DEP_1)
	v_fmac_f32_e32 v65, 0x3e9e377a, v9
	v_fma_f32 v36, 0x3f737871, v65, -v6
	v_add_f32_e32 v6, v54, v14
	v_sub_f32_e32 v14, v54, v14
	v_fmac_f32_e32 v57, 0xbf167918, v2
	v_fmac_f32_e32 v37, 0x3f167918, v53
	s_delay_alu instid0(VALU_DEP_2) | instskip(SKIP_3) | instid1(VALU_DEP_4)
	v_fmac_f32_e32 v57, 0x3e9e377a, v9
	v_fmac_f32_e32 v51, 0x3f737871, v2
	v_dual_add_f32 v2, v7, v10 :: v_dual_fmac_f32 v15, 0xbf167918, v53
	v_mul_f32_e32 v9, 0x3e9e377a, v65
	v_mul_f32_e32 v32, 0x3f737871, v57
	s_delay_alu instid0(VALU_DEP_4) | instskip(SKIP_2) | instid1(VALU_DEP_3)
	v_fmac_f32_e32 v51, 0x3f167918, v72
	v_mul_f32_e32 v7, 0x3f4f1bbd, v48
	v_fmac_f32_e32 v37, 0x3e9e377a, v38
	v_fmac_f32_e32 v51, 0x3e9e377a, v52
	s_delay_alu instid0(VALU_DEP_1) | instskip(NEXT) | instid1(VALU_DEP_1)
	v_mul_f32_e32 v10, 0x3f4f1bbd, v51
	v_fma_f32 v39, 0xbf167918, v48, -v10
	v_add_f32_e32 v10, v30, v36
	v_sub_f32_e32 v30, v30, v36
	v_fmac_f32_e32 v11, 0x3f167918, v60
	s_delay_alu instid0(VALU_DEP_4) | instskip(NEXT) | instid1(VALU_DEP_2)
	v_add_f32_e32 v13, v37, v39
	v_fmac_f32_e32 v11, 0x3e9e377a, v50
	v_mul_f32_e32 v33, 0xbf167918, v8
	v_fmac_f32_e32 v15, 0x3e9e377a, v38
	v_fma_f32 v38, 0x3f167918, v51, -v7
	s_delay_alu instid0(VALU_DEP_4) | instskip(SKIP_4) | instid1(VALU_DEP_4)
	v_fmac_f32_e32 v32, 0x3e9e377a, v11
	v_mul_f32_e32 v35, 0xbf737871, v11
	v_fmac_f32_e32 v33, 0x3f4f1bbd, v31
	v_fma_f32 v31, 0xbf737871, v34, -v9
	v_add_f32_e32 v12, v77, v38
	v_dual_add_f32 v8, v55, v32 :: v_dual_fmac_f32 v35, 0x3e9e377a, v57
	s_delay_alu instid0(VALU_DEP_4) | instskip(NEXT) | instid1(VALU_DEP_4)
	v_add_f32_e32 v7, v15, v33
	v_add_f32_e32 v11, v47, v31
	v_sub_f32_e32 v34, v55, v32
	v_sub_f32_e32 v15, v15, v33
	v_add_f32_e32 v9, v56, v35
	v_dual_sub_f32 v35, v56, v35 :: v_dual_sub_f32 v32, v77, v38
	v_sub_f32_e32 v31, v47, v31
	v_sub_f32_e32 v33, v37, v39
	ds_store_2addr_b64 v41, v[1:2], v[6:7] offset1:48
	ds_store_2addr_b64 v41, v[8:9], v[10:11] offset0:96 offset1:144
	ds_store_2addr_b64 v41, v[12:13], v[4:5] offset0:192 offset1:240
	;; [unrolled: 1-line block ×4, first 2 shown]
	s_waitcnt lgkmcnt(0)
	s_barrier
	buffer_gl0_inv
	ds_load_2addr_stride64_b64 v[4:7], v63 offset0:7 offset1:10
	ds_load_2addr_stride64_b64 v[8:11], v0 offset0:15 offset1:18
	;; [unrolled: 1-line block ×3, first 2 shown]
	ds_load_b64 v[36:37], v0
	ds_load_b64 v[38:39], v3
	s_and_saveexec_b32 s8, vcc_lo
	s_cbranch_execz .LBB0_40
; %bb.39:
	v_add_nc_u32_e32 v1, 0x600, v3
	ds_load_b64 v[32:33], v0 offset:6912
	ds_load_b64 v[26:27], v0 offset:10752
	ds_load_b64 v[30:31], v1
	ds_load_b64 v[28:29], v0 offset:14592
.LBB0_40:
	s_or_b32 exec_lo, exec_lo, s8
	v_mul_u32_u24_e32 v0, 3, v42
	v_mul_lo_u16 v1, v46, 13
	s_and_b32 vcc_lo, exec_lo, s3
	s_delay_alu instid0(VALU_DEP_2) | instskip(NEXT) | instid1(VALU_DEP_2)
	v_lshlrev_b32_e32 v0, 3, v0
	v_lshrrev_b16 v47, 9, v1
	s_clause 0x1
	global_load_b128 v[48:51], v0, s[14:15] offset:288
	global_load_b64 v[56:57], v0, s[14:15] offset:304
	v_mul_lo_u16 v1, v47, 40
	s_delay_alu instid0(VALU_DEP_1) | instskip(SKIP_1) | instid1(VALU_DEP_2)
	v_sub_nc_u16 v0, v46, v1
	v_mul_lo_u16 v1, v40, 13
	v_mul_lo_u16 v0, v0, 3
	s_waitcnt vmcnt(1) lgkmcnt(4)
	v_mul_f32_e32 v41, v49, v4
	s_delay_alu instid0(VALU_DEP_1) | instskip(NEXT) | instid1(VALU_DEP_1)
	v_dual_fmac_f32 v41, v48, v5 :: v_dual_and_b32 v0, 0xff, v0
	v_lshlrev_b32_e32 v0, 3, v0
	s_clause 0x1
	global_load_b128 v[52:55], v0, s[14:15] offset:288
	global_load_b64 v[58:59], v0, s[14:15] offset:304
	v_lshrrev_b16 v0, 9, v1
	s_delay_alu instid0(VALU_DEP_1) | instskip(NEXT) | instid1(VALU_DEP_1)
	v_mul_lo_u16 v0, v0, 40
	v_sub_nc_u16 v0, v40, v0
	v_mul_f32_e32 v40, v49, v5
	s_waitcnt lgkmcnt(3)
	v_mul_f32_e32 v49, v51, v9
	v_mul_f32_e32 v51, v51, v8
	v_mul_lo_u16 v0, v0, 3
	v_fma_f32 v4, v48, v4, -v40
	s_waitcnt vmcnt(2) lgkmcnt(2)
	v_mul_f32_e32 v60, v57, v13
	v_fma_f32 v5, v50, v8, -v49
	v_fmac_f32_e32 v51, v50, v9
	s_delay_alu instid0(VALU_DEP_3) | instskip(SKIP_1) | instid1(VALU_DEP_3)
	v_fma_f32 v8, v56, v12, -v60
	s_waitcnt lgkmcnt(1)
	v_sub_f32_e32 v9, v36, v5
	s_waitcnt vmcnt(1)
	s_delay_alu instid0(VALU_DEP_2)
	v_dual_sub_f32 v5, v4, v8 :: v_dual_mul_f32 v40, v53, v6
	v_mul_f32_e32 v57, v57, v12
	v_sub_f32_e32 v12, v37, v51
	s_waitcnt vmcnt(0)
	v_mul_f32_e32 v50, v59, v15
	v_dual_mul_f32 v49, v55, v10 :: v_dual_fmac_f32 v40, v52, v7
	v_dual_fmac_f32 v57, v56, v13 :: v_dual_and_b32 v0, 0xff, v0
	v_fma_f32 v48, v37, 2.0, -v12
	v_fma_f32 v13, v36, 2.0, -v9
	;; [unrolled: 1-line block ×3, first 2 shown]
	s_delay_alu instid0(VALU_DEP_4)
	v_lshlrev_b32_e32 v0, 3, v0
	s_clause 0x1
	global_load_b64 v[34:35], v0, s[14:15] offset:304
	global_load_b128 v[0:3], v0, s[14:15] offset:288
	v_sub_f32_e32 v8, v41, v57
	v_dual_sub_f32 v36, v13, v36 :: v_dual_mul_f32 v51, v59, v14
	v_fmac_f32_e32 v49, v54, v11
	s_delay_alu instid0(VALU_DEP_3) | instskip(SKIP_2) | instid1(VALU_DEP_3)
	v_fma_f32 v37, v41, 2.0, -v8
	v_mul_f32_e32 v41, v55, v11
	s_waitcnt lgkmcnt(0)
	v_sub_f32_e32 v11, v39, v49
	s_delay_alu instid0(VALU_DEP_3) | instskip(SKIP_2) | instid1(VALU_DEP_3)
	v_dual_sub_f32 v37, v48, v37 :: v_dual_sub_f32 v4, v9, v8
	v_dual_add_f32 v5, v12, v5 :: v_dual_mul_f32 v8, v53, v7
	v_fma_f32 v7, v54, v10, -v41
	v_fma_f32 v41, v48, 2.0, -v37
	s_delay_alu instid0(VALU_DEP_3) | instskip(SKIP_1) | instid1(VALU_DEP_4)
	v_fma_f32 v6, v52, v6, -v8
	v_fma_f32 v8, v58, v14, -v50
	v_sub_f32_e32 v10, v38, v7
	v_fma_f32 v14, v9, 2.0, -v4
	s_delay_alu instid0(VALU_DEP_3) | instskip(NEXT) | instid1(VALU_DEP_1)
	v_sub_f32_e32 v7, v6, v8
	v_fma_f32 v9, v6, 2.0, -v7
	v_fmac_f32_e32 v51, v58, v15
	v_fma_f32 v15, v12, 2.0, -v5
	v_fma_f32 v12, v38, 2.0, -v10
	;; [unrolled: 1-line block ×3, first 2 shown]
	s_delay_alu instid0(VALU_DEP_4) | instskip(SKIP_1) | instid1(VALU_DEP_2)
	v_sub_f32_e32 v8, v40, v51
	v_add_f32_e32 v7, v11, v7
	v_fma_f32 v39, v40, 2.0, -v8
	v_sub_f32_e32 v6, v10, v8
	v_sub_f32_e32 v8, v12, v9
	v_fma_f32 v40, v13, 2.0, -v36
	v_fma_f32 v11, v11, 2.0, -v7
	v_sub_f32_e32 v9, v38, v39
	v_fma_f32 v10, v10, 2.0, -v6
	v_fma_f32 v12, v12, 2.0, -v8
	s_delay_alu instid0(VALU_DEP_3)
	v_fma_f32 v13, v38, 2.0, -v9
	s_cbranch_vccz .LBB0_44
; %bb.41:
	s_mov_b32 s3, 0
                                        ; implicit-def: $vgpr38_vgpr39
	s_and_saveexec_b32 s8, s1
	s_delay_alu instid0(SALU_CYCLE_1)
	s_xor_b32 s1, exec_lo, s8
	s_cbranch_execz .LBB0_43
; %bb.42:
	v_mad_u64_u32 v[38:39], null, s4, v42, 0
	v_mad_u64_u32 v[48:49], null, s4, v43, 0
	s_lshl_b64 s[8:9], s[6:7], 3
	v_mad_u64_u32 v[56:57], null, s4, v45, 0
	s_add_u32 s2, s12, s8
	s_delay_alu instid0(VALU_DEP_3) | instskip(SKIP_2) | instid1(VALU_DEP_2)
	v_mad_u64_u32 v[50:51], null, s5, v42, v[39:40]
	v_mad_u64_u32 v[51:52], null, s4, v44, 0
	s_addc_u32 s8, s13, s9
	v_mad_u64_u32 v[53:54], null, s5, v43, v[49:50]
	v_lshlrev_b64 v[54:55], 3, v[16:17]
	s_delay_alu instid0(VALU_DEP_3) | instskip(NEXT) | instid1(VALU_DEP_3)
	v_dual_mov_b32 v39, v50 :: v_dual_mov_b32 v50, v52
	v_mov_b32_e32 v49, v53
	s_delay_alu instid0(VALU_DEP_2) | instskip(NEXT) | instid1(VALU_DEP_4)
	v_lshlrev_b64 v[52:53], 3, v[38:39]
	v_add_co_u32 v38, vcc_lo, s2, v54
	v_add_co_ci_u32_e32 v39, vcc_lo, s8, v55, vcc_lo
	v_mad_u64_u32 v[54:55], null, s5, v44, v[50:51]
	s_delay_alu instid0(VALU_DEP_3) | instskip(NEXT) | instid1(VALU_DEP_3)
	v_add_co_u32 v58, vcc_lo, v38, v52
	v_add_co_ci_u32_e32 v59, vcc_lo, v39, v53, vcc_lo
	v_dual_mov_b32 v50, v57 :: v_dual_and_b32 v53, 0xffff, v47
	s_delay_alu instid0(VALU_DEP_4)
	v_mov_b32_e32 v52, v54
	v_lshlrev_b64 v[48:49], 3, v[48:49]
	global_store_b64 v[58:59], v[40:41], off
	v_mad_u32_u24 v60, 0x78, v53, v46
	s_and_b32 s2, s0, exec_lo
	v_add_co_u32 v48, vcc_lo, v38, v48
	v_add_co_ci_u32_e32 v49, vcc_lo, v39, v49, vcc_lo
	s_delay_alu instid0(VALU_DEP_3)
	v_add_nc_u32_e32 v63, 0x78, v60
	global_store_b64 v[48:49], v[14:15], off
	v_lshlrev_b64 v[48:49], 3, v[51:52]
	v_mad_u64_u32 v[51:52], null, s5, v45, v[50:51]
	v_mad_u64_u32 v[52:53], null, s4, v60, 0
	v_add_nc_u32_e32 v61, 40, v60
	s_delay_alu instid0(VALU_DEP_4)
	v_add_co_u32 v48, vcc_lo, v38, v48
	v_add_co_ci_u32_e32 v49, vcc_lo, v39, v49, vcc_lo
	v_dual_mov_b32 v57, v51 :: v_dual_add_nc_u32 v62, 0x50, v60
	global_store_b64 v[48:49], v[36:37], off
	v_mov_b32_e32 v48, v53
	v_mad_u64_u32 v[54:55], null, s4, v61, 0
	v_mad_u64_u32 v[49:50], null, s4, v62, 0
	v_lshlrev_b64 v[56:57], 3, v[56:57]
	s_delay_alu instid0(VALU_DEP_3) | instskip(NEXT) | instid1(VALU_DEP_3)
	v_mov_b32_e32 v51, v55
	v_mad_u64_u32 v[58:59], null, s5, v60, v[48:49]
	s_delay_alu instid0(VALU_DEP_4) | instskip(NEXT) | instid1(VALU_DEP_3)
	v_mov_b32_e32 v48, v50
	v_mad_u64_u32 v[59:60], null, s5, v61, v[51:52]
	v_mad_u64_u32 v[60:61], null, s4, v63, 0
	v_add_co_u32 v50, vcc_lo, v38, v56
	v_add_co_ci_u32_e32 v51, vcc_lo, v39, v57, vcc_lo
	v_mad_u64_u32 v[56:57], null, s5, v62, v[48:49]
	s_delay_alu instid0(VALU_DEP_4)
	v_dual_mov_b32 v48, v61 :: v_dual_mov_b32 v53, v58
	v_mov_b32_e32 v55, v59
	global_store_b64 v[50:51], v[4:5], off
	v_mad_u64_u32 v[57:58], null, s5, v63, v[48:49]
	v_mov_b32_e32 v50, v56
	v_lshlrev_b64 v[51:52], 3, v[52:53]
	v_lshlrev_b64 v[53:54], 3, v[54:55]
	s_delay_alu instid0(VALU_DEP_3) | instskip(SKIP_1) | instid1(VALU_DEP_4)
	v_lshlrev_b64 v[48:49], 3, v[49:50]
	v_mov_b32_e32 v61, v57
	v_add_co_u32 v51, vcc_lo, v38, v51
	v_add_co_ci_u32_e32 v52, vcc_lo, v39, v52, vcc_lo
	v_add_co_u32 v53, vcc_lo, v38, v53
	s_delay_alu instid0(VALU_DEP_4) | instskip(SKIP_3) | instid1(VALU_DEP_4)
	v_lshlrev_b64 v[55:56], 3, v[60:61]
	v_add_co_ci_u32_e32 v54, vcc_lo, v39, v54, vcc_lo
	v_add_co_u32 v48, vcc_lo, v38, v48
	v_add_co_ci_u32_e32 v49, vcc_lo, v39, v49, vcc_lo
	v_add_co_u32 v55, vcc_lo, v38, v55
	v_add_co_ci_u32_e32 v56, vcc_lo, v39, v56, vcc_lo
	s_clause 0x3
	global_store_b64 v[51:52], v[12:13], off
	global_store_b64 v[53:54], v[10:11], off
	;; [unrolled: 1-line block ×4, first 2 shown]
.LBB0_43:
	s_or_b32 exec_lo, exec_lo, s1
	s_delay_alu instid0(SALU_CYCLE_1)
	s_and_b32 vcc_lo, exec_lo, s3
	s_cbranch_vccnz .LBB0_45
	s_branch .LBB0_46
.LBB0_44:
                                        ; implicit-def: $vgpr38_vgpr39
	s_cbranch_execz .LBB0_46
.LBB0_45:
	v_mad_u64_u32 v[38:39], null, s4, v42, 0
	v_mad_u64_u32 v[48:49], null, s4, v43, 0
	v_mad_u64_u32 v[50:51], null, s4, v44, 0
	v_and_b32_e32 v55, 0xffff, v47
	v_lshlrev_b64 v[16:17], 3, v[16:17]
	v_mad_u64_u32 v[52:53], null, s5, v42, v[39:40]
	v_mov_b32_e32 v42, v49
	v_mad_u64_u32 v[53:54], null, s4, v45, 0
	v_mov_b32_e32 v47, v51
	s_lshl_b64 s[6:7], s[6:7], 3
	s_delay_alu instid0(SALU_CYCLE_1) | instskip(NEXT) | instid1(VALU_DEP_4)
	s_add_u32 s1, s12, s6
	v_mov_b32_e32 v39, v52
	v_mad_u64_u32 v[51:52], null, s5, v43, v[42:43]
	v_mad_u64_u32 v[42:43], null, s5, v44, v[47:48]
	s_delay_alu instid0(VALU_DEP_3)
	v_lshlrev_b64 v[43:44], 3, v[38:39]
	s_addc_u32 s3, s13, s7
	v_add_co_u32 v38, vcc_lo, s1, v16
	v_add_co_ci_u32_e32 v39, vcc_lo, s3, v17, vcc_lo
	v_mad_u32_u24 v52, 0x78, v55, v46
	v_mov_b32_e32 v49, v51
	s_delay_alu instid0(VALU_DEP_4) | instskip(NEXT) | instid1(VALU_DEP_4)
	v_add_co_u32 v16, vcc_lo, v38, v43
	v_add_co_ci_u32_e32 v17, vcc_lo, v39, v44, vcc_lo
	v_mov_b32_e32 v51, v42
	v_mov_b32_e32 v44, v54
	v_mad_u64_u32 v[46:47], null, s4, v52, 0
	v_lshlrev_b64 v[42:43], 3, v[48:49]
	s_delay_alu instid0(VALU_DEP_4) | instskip(NEXT) | instid1(VALU_DEP_4)
	v_lshlrev_b64 v[48:49], 3, v[50:51]
	v_mad_u64_u32 v[50:51], null, s5, v45, v[44:45]
	v_add_nc_u32_e32 v51, 40, v52
	s_and_not1_b32 s1, s2, exec_lo
	s_delay_alu instid0(VALU_DEP_4)
	v_add_co_u32 v42, vcc_lo, v38, v42
	v_mov_b32_e32 v44, v47
	v_add_co_ci_u32_e32 v43, vcc_lo, v39, v43, vcc_lo
	v_add_co_u32 v47, vcc_lo, v38, v48
	v_add_co_ci_u32_e32 v48, vcc_lo, v39, v49, vcc_lo
	v_mov_b32_e32 v54, v50
	v_mad_u64_u32 v[49:50], null, s5, v52, v[44:45]
	v_mad_u64_u32 v[44:45], null, s4, v51, 0
	s_clause 0x2
	global_store_b64 v[16:17], v[40:41], off
	global_store_b64 v[42:43], v[14:15], off
	;; [unrolled: 1-line block ×3, first 2 shown]
	v_add_nc_u32_e32 v48, 0x50, v52
	v_lshlrev_b64 v[14:15], 3, v[53:54]
	s_and_b32 s0, s0, exec_lo
	v_mov_b32_e32 v47, v49
	v_dual_mov_b32 v16, v45 :: v_dual_add_nc_u32 v49, 0x78, v52
	v_mad_u64_u32 v[36:37], null, s4, v48, 0
	s_delay_alu instid0(VALU_DEP_4) | instskip(NEXT) | instid1(VALU_DEP_3)
	v_add_co_u32 v14, vcc_lo, v38, v14
	v_mad_u64_u32 v[40:41], null, s5, v51, v[16:17]
	s_delay_alu instid0(VALU_DEP_4) | instskip(NEXT) | instid1(VALU_DEP_4)
	v_mad_u64_u32 v[16:17], null, s4, v49, 0
	v_mad_u64_u32 v[42:43], null, s5, v48, v[37:38]
	v_add_co_ci_u32_e32 v15, vcc_lo, v39, v15, vcc_lo
	s_delay_alu instid0(VALU_DEP_4) | instskip(SKIP_2) | instid1(VALU_DEP_4)
	v_mov_b32_e32 v45, v40
	v_lshlrev_b64 v[40:41], 3, v[46:47]
	s_or_b32 s2, s1, s0
	v_mov_b32_e32 v37, v42
	s_delay_alu instid0(VALU_DEP_3) | instskip(SKIP_1) | instid1(VALU_DEP_4)
	v_lshlrev_b64 v[43:44], 3, v[44:45]
	v_mad_u64_u32 v[45:46], null, s5, v49, v[17:18]
	v_add_co_u32 v40, vcc_lo, v38, v40
	v_add_co_ci_u32_e32 v41, vcc_lo, v39, v41, vcc_lo
	s_delay_alu instid0(VALU_DEP_4) | instskip(NEXT) | instid1(VALU_DEP_4)
	v_add_co_u32 v42, vcc_lo, v38, v43
	v_mov_b32_e32 v17, v45
	v_add_co_ci_u32_e32 v43, vcc_lo, v39, v44, vcc_lo
	v_lshlrev_b64 v[36:37], 3, v[36:37]
	s_clause 0x2
	global_store_b64 v[14:15], v[4:5], off
	global_store_b64 v[40:41], v[12:13], off
	;; [unrolled: 1-line block ×3, first 2 shown]
	v_lshlrev_b64 v[4:5], 3, v[16:17]
	v_add_co_u32 v10, vcc_lo, v38, v36
	v_add_co_ci_u32_e32 v11, vcc_lo, v39, v37, vcc_lo
	s_delay_alu instid0(VALU_DEP_3) | instskip(NEXT) | instid1(VALU_DEP_4)
	v_add_co_u32 v4, vcc_lo, v38, v4
	v_add_co_ci_u32_e32 v5, vcc_lo, v39, v5, vcc_lo
	s_clause 0x1
	global_store_b64 v[10:11], v[8:9], off
	global_store_b64 v[4:5], v[6:7], off
.LBB0_46:
	s_and_saveexec_b32 s0, s2
	s_cbranch_execnz .LBB0_48
; %bb.47:
	s_nop 0
	s_sendmsg sendmsg(MSG_DEALLOC_VGPRS)
	s_endpgm
.LBB0_48:
	s_waitcnt vmcnt(0)
	v_dual_mul_f32 v4, v33, v1 :: v_dual_mul_f32 v5, v27, v3
	v_dual_mul_f32 v1, v32, v1 :: v_dual_mul_f32 v6, v29, v35
	v_lshlrev_b64 v[10:11], 3, v[20:21]
	s_delay_alu instid0(VALU_DEP_3) | instskip(SKIP_1) | instid1(VALU_DEP_4)
	v_fma_f32 v4, v32, v0, -v4
	v_lshlrev_b64 v[12:13], 3, v[22:23]
	v_fmac_f32_e32 v1, v33, v0
	v_fma_f32 v0, v26, v2, -v5
	v_mul_f32_e32 v7, v28, v35
	v_lshlrev_b64 v[14:15], 3, v[24:25]
	s_delay_alu instid0(VALU_DEP_3) | instskip(SKIP_1) | instid1(VALU_DEP_4)
	v_sub_f32_e32 v8, v30, v0
	v_mul_f32_e32 v3, v26, v3
	v_fmac_f32_e32 v7, v29, v34
	s_delay_alu instid0(VALU_DEP_2) | instskip(SKIP_2) | instid1(VALU_DEP_3)
	v_fmac_f32_e32 v3, v27, v2
	v_fma_f32 v2, v28, v34, -v6
	v_fma_f32 v6, v30, 2.0, -v8
	v_sub_f32_e32 v9, v31, v3
	s_delay_alu instid0(VALU_DEP_3) | instskip(NEXT) | instid1(VALU_DEP_1)
	v_sub_f32_e32 v3, v4, v2
	v_fma_f32 v0, v4, 2.0, -v3
	v_lshlrev_b64 v[4:5], 3, v[18:19]
	s_delay_alu instid0(VALU_DEP_2) | instskip(SKIP_2) | instid1(VALU_DEP_4)
	v_dual_add_f32 v3, v9, v3 :: v_dual_sub_f32 v0, v6, v0
	v_sub_f32_e32 v2, v1, v7
	v_fma_f32 v7, v31, 2.0, -v9
	v_add_co_u32 v4, vcc_lo, v38, v4
	v_add_co_ci_u32_e32 v5, vcc_lo, v39, v5, vcc_lo
	s_delay_alu instid0(VALU_DEP_4) | instskip(SKIP_3) | instid1(VALU_DEP_4)
	v_fma_f32 v1, v1, 2.0, -v2
	v_add_co_u32 v10, vcc_lo, v38, v10
	v_sub_f32_e32 v2, v8, v2
	v_add_co_ci_u32_e32 v11, vcc_lo, v39, v11, vcc_lo
	v_sub_f32_e32 v1, v7, v1
	v_add_co_u32 v12, vcc_lo, v38, v12
	v_fma_f32 v6, v6, 2.0, -v0
	v_add_co_ci_u32_e32 v13, vcc_lo, v39, v13, vcc_lo
	s_delay_alu instid0(VALU_DEP_4)
	v_fma_f32 v7, v7, 2.0, -v1
	v_fma_f32 v8, v8, 2.0, -v2
	;; [unrolled: 1-line block ×3, first 2 shown]
	v_add_co_u32 v14, vcc_lo, v38, v14
	v_add_co_ci_u32_e32 v15, vcc_lo, v39, v15, vcc_lo
	s_clause 0x3
	global_store_b64 v[4:5], v[6:7], off
	global_store_b64 v[10:11], v[8:9], off
	;; [unrolled: 1-line block ×4, first 2 shown]
	s_nop 0
	s_sendmsg sendmsg(MSG_DEALLOC_VGPRS)
	s_endpgm
	.section	.rodata,"a",@progbits
	.p2align	6, 0x0
	.amdhsa_kernel fft_rtc_fwd_len160_factors_4_10_4_wgs_192_tpt_16_sp_ip_CI_sbcc_dirReg_intrinsicRead
		.amdhsa_group_segment_fixed_size 0
		.amdhsa_private_segment_fixed_size 0
		.amdhsa_kernarg_size 96
		.amdhsa_user_sgpr_count 15
		.amdhsa_user_sgpr_dispatch_ptr 0
		.amdhsa_user_sgpr_queue_ptr 0
		.amdhsa_user_sgpr_kernarg_segment_ptr 1
		.amdhsa_user_sgpr_dispatch_id 0
		.amdhsa_user_sgpr_private_segment_size 0
		.amdhsa_wavefront_size32 1
		.amdhsa_uses_dynamic_stack 0
		.amdhsa_enable_private_segment 0
		.amdhsa_system_sgpr_workgroup_id_x 1
		.amdhsa_system_sgpr_workgroup_id_y 0
		.amdhsa_system_sgpr_workgroup_id_z 0
		.amdhsa_system_sgpr_workgroup_info 0
		.amdhsa_system_vgpr_workitem_id 0
		.amdhsa_next_free_vgpr 78
		.amdhsa_next_free_sgpr 44
		.amdhsa_reserve_vcc 1
		.amdhsa_float_round_mode_32 0
		.amdhsa_float_round_mode_16_64 0
		.amdhsa_float_denorm_mode_32 3
		.amdhsa_float_denorm_mode_16_64 3
		.amdhsa_dx10_clamp 1
		.amdhsa_ieee_mode 1
		.amdhsa_fp16_overflow 0
		.amdhsa_workgroup_processor_mode 1
		.amdhsa_memory_ordered 1
		.amdhsa_forward_progress 0
		.amdhsa_shared_vgpr_count 0
		.amdhsa_exception_fp_ieee_invalid_op 0
		.amdhsa_exception_fp_denorm_src 0
		.amdhsa_exception_fp_ieee_div_zero 0
		.amdhsa_exception_fp_ieee_overflow 0
		.amdhsa_exception_fp_ieee_underflow 0
		.amdhsa_exception_fp_ieee_inexact 0
		.amdhsa_exception_int_div_zero 0
	.end_amdhsa_kernel
	.text
.Lfunc_end0:
	.size	fft_rtc_fwd_len160_factors_4_10_4_wgs_192_tpt_16_sp_ip_CI_sbcc_dirReg_intrinsicRead, .Lfunc_end0-fft_rtc_fwd_len160_factors_4_10_4_wgs_192_tpt_16_sp_ip_CI_sbcc_dirReg_intrinsicRead
                                        ; -- End function
	.section	.AMDGPU.csdata,"",@progbits
; Kernel info:
; codeLenInByte = 6944
; NumSgprs: 46
; NumVgprs: 78
; ScratchSize: 0
; MemoryBound: 0
; FloatMode: 240
; IeeeMode: 1
; LDSByteSize: 0 bytes/workgroup (compile time only)
; SGPRBlocks: 5
; VGPRBlocks: 9
; NumSGPRsForWavesPerEU: 46
; NumVGPRsForWavesPerEU: 78
; Occupancy: 15
; WaveLimiterHint : 1
; COMPUTE_PGM_RSRC2:SCRATCH_EN: 0
; COMPUTE_PGM_RSRC2:USER_SGPR: 15
; COMPUTE_PGM_RSRC2:TRAP_HANDLER: 0
; COMPUTE_PGM_RSRC2:TGID_X_EN: 1
; COMPUTE_PGM_RSRC2:TGID_Y_EN: 0
; COMPUTE_PGM_RSRC2:TGID_Z_EN: 0
; COMPUTE_PGM_RSRC2:TIDIG_COMP_CNT: 0
	.text
	.p2alignl 7, 3214868480
	.fill 96, 4, 3214868480
	.type	__hip_cuid_30efcc1f6c49c711,@object ; @__hip_cuid_30efcc1f6c49c711
	.section	.bss,"aw",@nobits
	.globl	__hip_cuid_30efcc1f6c49c711
__hip_cuid_30efcc1f6c49c711:
	.byte	0                               ; 0x0
	.size	__hip_cuid_30efcc1f6c49c711, 1

	.ident	"AMD clang version 19.0.0git (https://github.com/RadeonOpenCompute/llvm-project roc-6.4.0 25133 c7fe45cf4b819c5991fe208aaa96edf142730f1d)"
	.section	".note.GNU-stack","",@progbits
	.addrsig
	.addrsig_sym __hip_cuid_30efcc1f6c49c711
	.amdgpu_metadata
---
amdhsa.kernels:
  - .args:
      - .actual_access:  read_only
        .address_space:  global
        .offset:         0
        .size:           8
        .value_kind:     global_buffer
      - .address_space:  global
        .offset:         8
        .size:           8
        .value_kind:     global_buffer
      - .offset:         16
        .size:           8
        .value_kind:     by_value
      - .actual_access:  read_only
        .address_space:  global
        .offset:         24
        .size:           8
        .value_kind:     global_buffer
      - .actual_access:  read_only
        .address_space:  global
        .offset:         32
        .size:           8
        .value_kind:     global_buffer
      - .offset:         40
        .size:           8
        .value_kind:     by_value
      - .actual_access:  read_only
        .address_space:  global
        .offset:         48
        .size:           8
        .value_kind:     global_buffer
      - .actual_access:  read_only
        .address_space:  global
        .offset:         56
        .size:           8
        .value_kind:     global_buffer
      - .offset:         64
        .size:           4
        .value_kind:     by_value
      - .actual_access:  read_only
        .address_space:  global
        .offset:         72
        .size:           8
        .value_kind:     global_buffer
      - .actual_access:  read_only
        .address_space:  global
        .offset:         80
        .size:           8
        .value_kind:     global_buffer
      - .address_space:  global
        .offset:         88
        .size:           8
        .value_kind:     global_buffer
    .group_segment_fixed_size: 0
    .kernarg_segment_align: 8
    .kernarg_segment_size: 96
    .language:       OpenCL C
    .language_version:
      - 2
      - 0
    .max_flat_workgroup_size: 192
    .name:           fft_rtc_fwd_len160_factors_4_10_4_wgs_192_tpt_16_sp_ip_CI_sbcc_dirReg_intrinsicRead
    .private_segment_fixed_size: 0
    .sgpr_count:     46
    .sgpr_spill_count: 0
    .symbol:         fft_rtc_fwd_len160_factors_4_10_4_wgs_192_tpt_16_sp_ip_CI_sbcc_dirReg_intrinsicRead.kd
    .uniform_work_group_size: 1
    .uses_dynamic_stack: false
    .vgpr_count:     78
    .vgpr_spill_count: 0
    .wavefront_size: 32
    .workgroup_processor_mode: 1
amdhsa.target:   amdgcn-amd-amdhsa--gfx1100
amdhsa.version:
  - 1
  - 2
...

	.end_amdgpu_metadata
